;; amdgpu-corpus repo=ROCm/rocFFT kind=compiled arch=gfx906 opt=O3
	.text
	.amdgcn_target "amdgcn-amd-amdhsa--gfx906"
	.amdhsa_code_object_version 6
	.protected	fft_rtc_fwd_len162_factors_6_3_3_3_wgs_243_tpt_27_halfLds_sp_op_CI_CI_sbrr_dirReg ; -- Begin function fft_rtc_fwd_len162_factors_6_3_3_3_wgs_243_tpt_27_halfLds_sp_op_CI_CI_sbrr_dirReg
	.globl	fft_rtc_fwd_len162_factors_6_3_3_3_wgs_243_tpt_27_halfLds_sp_op_CI_CI_sbrr_dirReg
	.p2align	8
	.type	fft_rtc_fwd_len162_factors_6_3_3_3_wgs_243_tpt_27_halfLds_sp_op_CI_CI_sbrr_dirReg,@function
fft_rtc_fwd_len162_factors_6_3_3_3_wgs_243_tpt_27_halfLds_sp_op_CI_CI_sbrr_dirReg: ; @fft_rtc_fwd_len162_factors_6_3_3_3_wgs_243_tpt_27_halfLds_sp_op_CI_CI_sbrr_dirReg
; %bb.0:
	s_load_dwordx4 s[16:19], s[4:5], 0x18
	s_load_dwordx4 s[12:15], s[4:5], 0x0
	;; [unrolled: 1-line block ×3, first 2 shown]
	v_mul_u32_u24_e32 v1, 0x97c, v0
	v_lshrrev_b32_e32 v1, 16, v1
	v_mad_u64_u32 v[5:6], s[0:1], s6, 9, v[1:2]
	s_waitcnt lgkmcnt(0)
	s_load_dwordx2 s[20:21], s[16:17], 0x0
	s_load_dwordx2 s[2:3], s[18:19], 0x0
	v_mov_b32_e32 v9, 0
	v_cmp_lt_u64_e64 s[0:1], s[14:15], 2
	v_mov_b32_e32 v7, 0
	v_mov_b32_e32 v6, v9
	;; [unrolled: 1-line block ×5, first 2 shown]
	s_and_b64 vcc, exec, s[0:1]
	v_mov_b32_e32 v2, v8
	v_mov_b32_e32 v4, v6
	s_cbranch_vccnz .LBB0_8
; %bb.1:
	s_load_dwordx2 s[0:1], s[4:5], 0x10
	s_add_u32 s6, s18, 8
	s_addc_u32 s7, s19, 0
	s_add_u32 s22, s16, 8
	s_addc_u32 s23, s17, 0
	v_mov_b32_e32 v7, 0
	s_waitcnt lgkmcnt(0)
	s_add_u32 s24, s0, 8
	v_mov_b32_e32 v8, 0
	v_mov_b32_e32 v1, v7
	;; [unrolled: 1-line block ×3, first 2 shown]
	s_addc_u32 s25, s1, 0
	s_mov_b64 s[26:27], 1
	v_mov_b32_e32 v2, v8
	v_mov_b32_e32 v11, v5
.LBB0_2:                                ; =>This Inner Loop Header: Depth=1
	s_load_dwordx2 s[28:29], s[24:25], 0x0
                                        ; implicit-def: $vgpr3_vgpr4
	s_waitcnt lgkmcnt(0)
	v_or_b32_e32 v10, s29, v12
	v_cmp_ne_u64_e32 vcc, 0, v[9:10]
	s_and_saveexec_b64 s[0:1], vcc
	s_xor_b64 s[30:31], exec, s[0:1]
	s_cbranch_execz .LBB0_4
; %bb.3:                                ;   in Loop: Header=BB0_2 Depth=1
	v_cvt_f32_u32_e32 v3, s28
	v_cvt_f32_u32_e32 v4, s29
	s_sub_u32 s0, 0, s28
	s_subb_u32 s1, 0, s29
	v_mac_f32_e32 v3, 0x4f800000, v4
	v_rcp_f32_e32 v3, v3
	v_mul_f32_e32 v3, 0x5f7ffffc, v3
	v_mul_f32_e32 v4, 0x2f800000, v3
	v_trunc_f32_e32 v4, v4
	v_mac_f32_e32 v3, 0xcf800000, v4
	v_cvt_u32_f32_e32 v4, v4
	v_cvt_u32_f32_e32 v3, v3
	v_mul_lo_u32 v6, s0, v4
	v_mul_hi_u32 v10, s0, v3
	v_mul_lo_u32 v14, s1, v3
	v_mul_lo_u32 v13, s0, v3
	v_add_u32_e32 v6, v10, v6
	v_add_u32_e32 v6, v6, v14
	v_mul_hi_u32 v10, v3, v13
	v_mul_lo_u32 v14, v3, v6
	v_mul_hi_u32 v16, v3, v6
	v_mul_hi_u32 v15, v4, v13
	v_mul_lo_u32 v13, v4, v13
	v_mul_hi_u32 v17, v4, v6
	v_add_co_u32_e32 v10, vcc, v10, v14
	v_addc_co_u32_e32 v14, vcc, 0, v16, vcc
	v_mul_lo_u32 v6, v4, v6
	v_add_co_u32_e32 v10, vcc, v10, v13
	v_addc_co_u32_e32 v10, vcc, v14, v15, vcc
	v_addc_co_u32_e32 v13, vcc, 0, v17, vcc
	v_add_co_u32_e32 v6, vcc, v10, v6
	v_addc_co_u32_e32 v10, vcc, 0, v13, vcc
	v_add_co_u32_e32 v3, vcc, v3, v6
	v_addc_co_u32_e32 v4, vcc, v4, v10, vcc
	v_mul_lo_u32 v6, s0, v4
	v_mul_hi_u32 v10, s0, v3
	v_mul_lo_u32 v13, s1, v3
	v_mul_lo_u32 v14, s0, v3
	v_add_u32_e32 v6, v10, v6
	v_add_u32_e32 v6, v6, v13
	v_mul_lo_u32 v15, v3, v6
	v_mul_hi_u32 v16, v3, v14
	v_mul_hi_u32 v17, v3, v6
	;; [unrolled: 1-line block ×3, first 2 shown]
	v_mul_lo_u32 v14, v4, v14
	v_mul_hi_u32 v10, v4, v6
	v_add_co_u32_e32 v15, vcc, v16, v15
	v_addc_co_u32_e32 v16, vcc, 0, v17, vcc
	v_mul_lo_u32 v6, v4, v6
	v_add_co_u32_e32 v14, vcc, v15, v14
	v_addc_co_u32_e32 v13, vcc, v16, v13, vcc
	v_addc_co_u32_e32 v10, vcc, 0, v10, vcc
	v_add_co_u32_e32 v6, vcc, v13, v6
	v_addc_co_u32_e32 v10, vcc, 0, v10, vcc
	v_add_co_u32_e32 v6, vcc, v3, v6
	v_addc_co_u32_e32 v10, vcc, v4, v10, vcc
	v_mad_u64_u32 v[3:4], s[0:1], v11, v10, 0
	v_mul_hi_u32 v13, v11, v6
	v_add_co_u32_e32 v15, vcc, v13, v3
	v_addc_co_u32_e32 v16, vcc, 0, v4, vcc
	v_mad_u64_u32 v[3:4], s[0:1], v12, v6, 0
	v_mad_u64_u32 v[13:14], s[0:1], v12, v10, 0
	v_add_co_u32_e32 v3, vcc, v15, v3
	v_addc_co_u32_e32 v3, vcc, v16, v4, vcc
	v_addc_co_u32_e32 v4, vcc, 0, v14, vcc
	v_add_co_u32_e32 v6, vcc, v3, v13
	v_addc_co_u32_e32 v10, vcc, 0, v4, vcc
	v_mul_lo_u32 v13, s29, v6
	v_mul_lo_u32 v14, s28, v10
	v_mad_u64_u32 v[3:4], s[0:1], s28, v6, 0
	v_add3_u32 v4, v4, v14, v13
	v_sub_u32_e32 v13, v12, v4
	v_mov_b32_e32 v14, s29
	v_sub_co_u32_e32 v3, vcc, v11, v3
	v_subb_co_u32_e64 v13, s[0:1], v13, v14, vcc
	v_subrev_co_u32_e64 v14, s[0:1], s28, v3
	v_subbrev_co_u32_e64 v13, s[0:1], 0, v13, s[0:1]
	v_cmp_le_u32_e64 s[0:1], s29, v13
	v_cndmask_b32_e64 v15, 0, -1, s[0:1]
	v_cmp_le_u32_e64 s[0:1], s28, v14
	v_cndmask_b32_e64 v14, 0, -1, s[0:1]
	v_cmp_eq_u32_e64 s[0:1], s29, v13
	v_cndmask_b32_e64 v13, v15, v14, s[0:1]
	v_add_co_u32_e64 v14, s[0:1], 2, v6
	v_addc_co_u32_e64 v15, s[0:1], 0, v10, s[0:1]
	v_add_co_u32_e64 v16, s[0:1], 1, v6
	v_addc_co_u32_e64 v17, s[0:1], 0, v10, s[0:1]
	v_subb_co_u32_e32 v4, vcc, v12, v4, vcc
	v_cmp_ne_u32_e64 s[0:1], 0, v13
	v_cmp_le_u32_e32 vcc, s29, v4
	v_cndmask_b32_e64 v13, v17, v15, s[0:1]
	v_cndmask_b32_e64 v15, 0, -1, vcc
	v_cmp_le_u32_e32 vcc, s28, v3
	v_cndmask_b32_e64 v3, 0, -1, vcc
	v_cmp_eq_u32_e32 vcc, s29, v4
	v_cndmask_b32_e32 v3, v15, v3, vcc
	v_cmp_ne_u32_e32 vcc, 0, v3
	v_cndmask_b32_e64 v3, v16, v14, s[0:1]
	v_cndmask_b32_e32 v4, v10, v13, vcc
	v_cndmask_b32_e32 v3, v6, v3, vcc
.LBB0_4:                                ;   in Loop: Header=BB0_2 Depth=1
	s_andn2_saveexec_b64 s[0:1], s[30:31]
	s_cbranch_execz .LBB0_6
; %bb.5:                                ;   in Loop: Header=BB0_2 Depth=1
	v_cvt_f32_u32_e32 v3, s28
	s_sub_i32 s30, 0, s28
	v_rcp_iflag_f32_e32 v3, v3
	v_mul_f32_e32 v3, 0x4f7ffffe, v3
	v_cvt_u32_f32_e32 v3, v3
	v_mul_lo_u32 v4, s30, v3
	v_mul_hi_u32 v4, v3, v4
	v_add_u32_e32 v3, v3, v4
	v_mul_hi_u32 v3, v11, v3
	v_mul_lo_u32 v4, v3, s28
	v_add_u32_e32 v6, 1, v3
	v_sub_u32_e32 v4, v11, v4
	v_subrev_u32_e32 v10, s28, v4
	v_cmp_le_u32_e32 vcc, s28, v4
	v_cndmask_b32_e32 v4, v4, v10, vcc
	v_cndmask_b32_e32 v3, v3, v6, vcc
	v_add_u32_e32 v6, 1, v3
	v_cmp_le_u32_e32 vcc, s28, v4
	v_cndmask_b32_e32 v3, v3, v6, vcc
	v_mov_b32_e32 v4, v9
.LBB0_6:                                ;   in Loop: Header=BB0_2 Depth=1
	s_or_b64 exec, exec, s[0:1]
	v_mul_lo_u32 v6, v4, s28
	v_mul_lo_u32 v10, v3, s29
	v_mad_u64_u32 v[13:14], s[0:1], v3, s28, 0
	s_load_dwordx2 s[0:1], s[22:23], 0x0
	s_load_dwordx2 s[28:29], s[6:7], 0x0
	v_add3_u32 v6, v14, v10, v6
	v_sub_co_u32_e32 v10, vcc, v11, v13
	v_subb_co_u32_e32 v6, vcc, v12, v6, vcc
	s_waitcnt lgkmcnt(0)
	v_mul_lo_u32 v11, s0, v6
	v_mul_lo_u32 v12, s1, v10
	v_mad_u64_u32 v[7:8], s[0:1], s0, v10, v[7:8]
	s_add_u32 s26, s26, 1
	s_addc_u32 s27, s27, 0
	s_add_u32 s6, s6, 8
	v_mul_lo_u32 v6, s28, v6
	v_mul_lo_u32 v13, s29, v10
	v_mad_u64_u32 v[1:2], s[0:1], s28, v10, v[1:2]
	v_add3_u32 v8, v12, v8, v11
	s_addc_u32 s7, s7, 0
	v_mov_b32_e32 v10, s14
	s_add_u32 s22, s22, 8
	v_mov_b32_e32 v11, s15
	s_addc_u32 s23, s23, 0
	v_cmp_ge_u64_e32 vcc, s[26:27], v[10:11]
	s_add_u32 s24, s24, 8
	v_add3_u32 v2, v13, v2, v6
	s_addc_u32 s25, s25, 0
	s_cbranch_vccnz .LBB0_8
; %bb.7:                                ;   in Loop: Header=BB0_2 Depth=1
	v_mov_b32_e32 v12, v4
	v_mov_b32_e32 v11, v3
	s_branch .LBB0_2
.LBB0_8:
	s_load_dwordx2 s[0:1], s[4:5], 0x28
	s_lshl_b64 s[14:15], s[14:15], 3
	s_add_u32 s4, s18, s14
	s_addc_u32 s5, s19, s15
                                        ; implicit-def: $vgpr20
                                        ; implicit-def: $vgpr21
	s_waitcnt lgkmcnt(0)
	v_cmp_gt_u64_e32 vcc, s[0:1], v[3:4]
	v_cmp_le_u64_e64 s[0:1], s[0:1], v[3:4]
	s_and_saveexec_b64 s[6:7], s[0:1]
	s_xor_b64 s[0:1], exec, s[6:7]
; %bb.9:
	s_mov_b32 s6, 0x97b425f
	v_mul_hi_u32 v6, v0, s6
                                        ; implicit-def: $vgpr7_vgpr8
	v_mul_u32_u24_e32 v6, 27, v6
	v_sub_u32_e32 v20, v0, v6
	v_add_u32_e32 v21, 27, v20
                                        ; implicit-def: $vgpr0
; %bb.10:
	s_or_saveexec_b64 s[6:7], s[0:1]
                                        ; implicit-def: $vgpr15
                                        ; implicit-def: $vgpr19
                                        ; implicit-def: $vgpr13
                                        ; implicit-def: $vgpr17
                                        ; implicit-def: $vgpr11
                                        ; implicit-def: $vgpr9
	s_xor_b64 exec, exec, s[6:7]
	s_cbranch_execz .LBB0_12
; %bb.11:
	s_add_u32 s0, s16, s14
	s_mov_b32 s14, 0x97b425f
	v_mul_hi_u32 v6, v0, s14
	s_addc_u32 s1, s17, s15
	s_load_dwordx2 s[0:1], s[0:1], 0x0
	v_mul_u32_u24_e32 v6, 27, v6
	v_sub_u32_e32 v20, v0, v6
	v_mad_u64_u32 v[9:10], s[14:15], s20, v20, 0
	s_waitcnt lgkmcnt(0)
	v_mul_lo_u32 v6, s1, v3
	v_mul_lo_u32 v15, s0, v4
	v_mad_u64_u32 v[11:12], s[0:1], s0, v3, 0
	v_mov_b32_e32 v0, v10
	v_mad_u64_u32 v[13:14], s[0:1], s21, v20, v[0:1]
	v_add3_u32 v12, v12, v15, v6
	v_lshlrev_b64 v[11:12], 3, v[11:12]
	v_mov_b32_e32 v10, v13
	v_mov_b32_e32 v0, s9
	v_add_co_u32_e64 v13, s[0:1], s8, v11
	v_add_u32_e32 v21, 27, v20
	v_addc_co_u32_e64 v0, s[0:1], v0, v12, s[0:1]
	v_mad_u64_u32 v[11:12], s[0:1], s20, v21, 0
	v_lshlrev_b64 v[6:7], 3, v[7:8]
	v_add_u32_e32 v16, 0x51, v20
	v_add_co_u32_e64 v30, s[0:1], v13, v6
	v_addc_co_u32_e64 v31, s[0:1], v0, v7, s[0:1]
	v_mov_b32_e32 v0, v12
	v_lshlrev_b64 v[6:7], 3, v[9:10]
	v_mad_u64_u32 v[8:9], s[0:1], s21, v21, v[0:1]
	v_add_u32_e32 v13, 54, v20
	v_mad_u64_u32 v[9:10], s[0:1], s20, v13, 0
	v_add_co_u32_e64 v6, s[0:1], v30, v6
	v_mov_b32_e32 v0, v10
	v_addc_co_u32_e64 v7, s[0:1], v31, v7, s[0:1]
	v_mad_u64_u32 v[13:14], s[0:1], s21, v13, v[0:1]
	v_mad_u64_u32 v[14:15], s[0:1], s20, v16, 0
	v_mov_b32_e32 v12, v8
	v_lshlrev_b64 v[11:12], 3, v[11:12]
	v_mov_b32_e32 v10, v13
	v_add_co_u32_e64 v18, s[0:1], v30, v11
	v_mov_b32_e32 v0, v15
	v_addc_co_u32_e64 v19, s[0:1], v31, v12, s[0:1]
	v_lshlrev_b64 v[8:9], 3, v[9:10]
	v_mad_u64_u32 v[10:11], s[0:1], s21, v16, v[0:1]
	v_add_u32_e32 v13, 0x6c, v20
	v_mad_u64_u32 v[11:12], s[0:1], s20, v13, 0
	v_add_co_u32_e64 v22, s[0:1], v30, v8
	v_mov_b32_e32 v15, v10
	v_addc_co_u32_e64 v23, s[0:1], v31, v9, s[0:1]
	v_lshlrev_b64 v[8:9], 3, v[14:15]
	v_mov_b32_e32 v0, v12
	v_mad_u64_u32 v[12:13], s[0:1], s21, v13, v[0:1]
	v_add_co_u32_e64 v14, s[0:1], v30, v8
	v_add_u32_e32 v10, 0x87, v20
	v_addc_co_u32_e64 v15, s[0:1], v31, v9, s[0:1]
	v_mad_u64_u32 v[24:25], s[0:1], s20, v10, 0
	v_lshlrev_b64 v[8:9], 3, v[11:12]
	v_add_co_u32_e64 v26, s[0:1], v30, v8
	v_mov_b32_e32 v0, v25
	v_addc_co_u32_e64 v27, s[0:1], v31, v9, s[0:1]
	v_mad_u64_u32 v[28:29], s[0:1], s21, v10, v[0:1]
	global_load_dwordx2 v[8:9], v[6:7], off
	global_load_dwordx2 v[10:11], v[18:19], off
	;; [unrolled: 1-line block ×4, first 2 shown]
	v_mov_b32_e32 v25, v28
	v_lshlrev_b64 v[6:7], 3, v[24:25]
	v_add_co_u32_e64 v6, s[0:1], v30, v6
	v_addc_co_u32_e64 v7, s[0:1], v31, v7, s[0:1]
	global_load_dwordx2 v[18:19], v[26:27], off
	global_load_dwordx2 v[14:15], v[6:7], off
.LBB0_12:
	s_or_b64 exec, exec, s[6:7]
	s_mov_b32 s0, 0x38e38e39
	v_mul_hi_u32 v0, v5, s0
	s_waitcnt vmcnt(3)
	v_add_f32_e32 v6, v16, v8
	s_waitcnt vmcnt(1)
	v_add_f32_e32 v7, v18, v6
	s_movk_i32 s0, 0xffec
	v_lshrrev_b32_e32 v0, 1, v0
	v_lshl_add_u32 v0, v0, 3, v0
	v_sub_u32_e32 v0, v5, v0
	v_add_f32_e32 v5, v18, v16
	v_fmac_f32_e32 v8, -0.5, v5
	v_sub_f32_e32 v5, v17, v19
	v_mov_b32_e32 v22, v8
	v_fmac_f32_e32 v22, 0x3f5db3d7, v5
	v_fmac_f32_e32 v8, 0xbf5db3d7, v5
	v_add_f32_e32 v5, v17, v9
	v_add_f32_e32 v23, v19, v5
	;; [unrolled: 1-line block ×3, first 2 shown]
	v_fmac_f32_e32 v9, -0.5, v5
	v_sub_f32_e32 v5, v16, v18
	v_mov_b32_e32 v17, v9
	v_fmac_f32_e32 v17, 0xbf5db3d7, v5
	v_fmac_f32_e32 v9, 0x3f5db3d7, v5
	v_add_f32_e32 v5, v12, v10
	s_waitcnt vmcnt(0)
	v_add_f32_e32 v16, v14, v5
	v_add_f32_e32 v5, v14, v12
	v_fmac_f32_e32 v10, -0.5, v5
	v_sub_f32_e32 v5, v13, v15
	v_mov_b32_e32 v18, v10
	v_fmac_f32_e32 v18, 0x3f5db3d7, v5
	v_fmac_f32_e32 v10, 0xbf5db3d7, v5
	v_add_f32_e32 v5, v13, v11
	v_add_f32_e32 v19, v15, v5
	;; [unrolled: 1-line block ×3, first 2 shown]
	v_fmac_f32_e32 v11, -0.5, v5
	v_sub_f32_e32 v5, v12, v14
	v_mov_b32_e32 v12, v11
	v_fmac_f32_e32 v11, 0x3f5db3d7, v5
	v_mul_u32_u24_e32 v0, 0xa2, v0
	v_fmac_f32_e32 v12, 0xbf5db3d7, v5
	v_mul_f32_e32 v15, 0.5, v18
	v_mul_f32_e32 v24, -0.5, v10
	v_mul_f32_e32 v25, -0.5, v11
	v_mul_f32_e32 v18, 0xbf5db3d7, v18
	v_add_f32_e32 v5, v16, v7
	v_fmac_f32_e32 v15, 0x3f5db3d7, v12
	v_fmac_f32_e32 v24, 0x3f5db3d7, v11
	v_fmac_f32_e32 v25, 0xbf5db3d7, v10
	v_sub_f32_e32 v11, v7, v16
	v_add_f32_e32 v13, v19, v23
	v_fmac_f32_e32 v18, 0.5, v12
	v_sub_f32_e32 v16, v23, v19
	v_lshlrev_b32_e32 v19, 2, v0
	v_add_f32_e32 v6, v22, v15
	v_add_f32_e32 v14, v17, v18
	v_sub_f32_e32 v7, v22, v15
	v_add_f32_e32 v15, v9, v25
	v_sub_f32_e32 v17, v17, v18
	v_sub_f32_e32 v18, v9, v25
	v_mul_u32_u24_e32 v9, 6, v20
	v_add_u32_e32 v12, 0, v19
	v_add_f32_e32 v10, v8, v24
	v_sub_f32_e32 v8, v8, v24
	v_lshl_add_u32 v24, v9, 2, v12
	s_load_dwordx2 s[4:5], s[4:5], 0x0
	ds_write2_b64 v24, v[5:6], v[10:11] offset1:1
	ds_write_b64 v24, v[7:8] offset:16
	v_mad_i32_i24 v11, v20, s0, v24
	s_movk_i32 s0, 0xab
	v_mul_lo_u16_sdwa v5, v20, s0 dst_sel:DWORD dst_unused:UNUSED_PAD src0_sel:BYTE_0 src1_sel:DWORD
	v_lshrrev_b16_e32 v28, 10, v5
	v_lshl_add_u32 v0, v20, 2, v12
	v_mul_lo_u16_e32 v5, 6, v28
	s_waitcnt lgkmcnt(0)
	s_barrier
	ds_read2_b32 v[9:10], v11 offset0:54 offset1:81
	ds_read2_b32 v[22:23], v11 offset0:108 offset1:135
	v_lshl_add_u32 v12, v21, 2, v12
	ds_read_b32 v26, v0
	ds_read_b32 v27, v12
	s_waitcnt lgkmcnt(0)
	s_barrier
	ds_write2_b64 v24, v[13:14], v[15:16] offset1:1
	ds_write_b64 v24, v[17:18] offset:16
	v_sub_u16_e32 v29, v20, v5
	v_mov_b32_e32 v30, 4
	v_mul_lo_u16_sdwa v13, v21, s0 dst_sel:DWORD dst_unused:UNUSED_PAD src0_sel:BYTE_0 src1_sel:DWORD
	v_lshlrev_b32_sdwa v5, v30, v29 dst_sel:DWORD dst_unused:UNUSED_PAD src0_sel:DWORD src1_sel:BYTE_0
	v_lshrrev_b16_e32 v31, 10, v13
	s_waitcnt lgkmcnt(0)
	s_barrier
	global_load_dwordx4 v[5:8], v5, s[12:13]
	v_mul_lo_u16_e32 v13, 6, v31
	v_sub_u16_e32 v32, v21, v13
	v_lshlrev_b32_sdwa v13, v30, v32 dst_sel:DWORD dst_unused:UNUSED_PAD src0_sel:DWORD src1_sel:BYTE_0
	global_load_dwordx4 v[13:16], v13, s[12:13]
	ds_read2_b32 v[17:18], v11 offset0:54 offset1:81
	ds_read2_b32 v[24:25], v11 offset0:108 offset1:135
	v_cmp_gt_u32_e64 s[0:1], 18, v20
	s_waitcnt vmcnt(1) lgkmcnt(1)
	v_mul_f32_e32 v33, v17, v6
	v_fma_f32 v33, v9, v5, -v33
	v_mul_f32_e32 v9, v9, v6
	v_fmac_f32_e32 v9, v17, v5
	s_waitcnt lgkmcnt(0)
	v_mul_f32_e32 v5, v24, v8
	v_fma_f32 v17, v22, v7, -v5
	v_mul_f32_e32 v22, v22, v8
	s_waitcnt vmcnt(0)
	v_mul_f32_e32 v5, v18, v14
	v_fmac_f32_e32 v22, v24, v7
	v_fma_f32 v24, v10, v13, -v5
	v_mul_f32_e32 v10, v10, v14
	v_mul_f32_e32 v5, v25, v16
	v_fmac_f32_e32 v10, v18, v13
	v_fma_f32 v13, v23, v15, -v5
	v_subrev_u32_e32 v5, 18, v20
	v_cndmask_b32_e64 v34, v5, v20, s[0:1]
	v_lshlrev_b32_e32 v5, 1, v34
	v_mov_b32_e32 v6, 0
	v_lshlrev_b64 v[7:8], 3, v[5:6]
	v_mul_f32_e32 v14, v23, v16
	v_fmac_f32_e32 v14, v25, v15
	v_mov_b32_e32 v15, s13
	v_add_co_u32_e64 v7, s[0:1], s12, v7
	v_addc_co_u32_e64 v8, s[0:1], v15, v8, s[0:1]
	v_add_f32_e32 v15, v33, v17
	s_movk_i32 s0, 0x48
	v_add_f32_e32 v5, v26, v33
	v_fmac_f32_e32 v26, -0.5, v15
	v_mad_u32_u24 v15, v28, s0, 0
	v_mov_b32_e32 v28, 2
	v_lshlrev_b32_sdwa v16, v28, v29 dst_sel:DWORD dst_unused:UNUSED_PAD src0_sel:DWORD src1_sel:BYTE_0
	v_add3_u32 v15, v15, v16, v19
	v_sub_f32_e32 v16, v9, v22
	v_mov_b32_e32 v18, v26
	v_add_f32_e32 v5, v5, v17
	v_fmac_f32_e32 v18, 0x3f5db3d7, v16
	ds_read_b32 v25, v0
	ds_read_b32 v29, v12
	v_fmac_f32_e32 v26, 0xbf5db3d7, v16
	v_add_f32_e32 v16, v24, v13
	s_waitcnt lgkmcnt(0)
	s_barrier
	ds_write2_b32 v15, v5, v18 offset1:6
	v_add_f32_e32 v5, v27, v24
	v_fmac_f32_e32 v27, -0.5, v16
	v_mad_u32_u24 v16, v31, s0, 0
	v_lshlrev_b32_sdwa v18, v28, v32 dst_sel:DWORD dst_unused:UNUSED_PAD src0_sel:DWORD src1_sel:BYTE_0
	v_add3_u32 v16, v16, v18, v19
	v_sub_f32_e32 v18, v10, v14
	v_mov_b32_e32 v23, v27
	v_add_f32_e32 v5, v5, v13
	v_fmac_f32_e32 v23, 0x3f5db3d7, v18
	ds_write_b32 v15, v26 offset:48
	ds_write2_b32 v16, v5, v23 offset1:6
	v_add_f32_e32 v5, v25, v9
	v_add_f32_e32 v9, v9, v22
	v_fmac_f32_e32 v25, -0.5, v9
	v_sub_f32_e32 v9, v33, v17
	v_mov_b32_e32 v26, v25
	v_add_f32_e32 v5, v5, v22
	v_fmac_f32_e32 v27, 0xbf5db3d7, v18
	v_fmac_f32_e32 v26, 0xbf5db3d7, v9
	;; [unrolled: 1-line block ×3, first 2 shown]
	v_add_f32_e32 v9, v10, v14
	ds_write_b32 v16, v27 offset:48
	s_waitcnt lgkmcnt(0)
	s_barrier
	ds_read_b32 v31, v0
	ds_read_b32 v32, v12
	ds_read2_b32 v[17:18], v11 offset0:54 offset1:81
	ds_read2_b32 v[22:23], v11 offset0:108 offset1:135
	s_waitcnt lgkmcnt(0)
	s_barrier
	ds_write2_b32 v15, v5, v26 offset1:6
	v_add_f32_e32 v5, v29, v10
	v_fmac_f32_e32 v29, -0.5, v9
	v_sub_f32_e32 v9, v24, v13
	v_mov_b32_e32 v10, v29
	v_add_f32_e32 v5, v5, v14
	v_fmac_f32_e32 v10, 0xbf5db3d7, v9
	ds_write_b32 v15, v25 offset:48
	ds_write2_b32 v16, v5, v10 offset1:6
	v_mov_b32_e32 v5, 57
	v_mul_lo_u16_sdwa v5, v21, v5 dst_sel:DWORD dst_unused:UNUSED_PAD src0_sel:BYTE_0 src1_sel:DWORD
	v_lshrrev_b16_e32 v5, 10, v5
	v_fmac_f32_e32 v29, 0x3f5db3d7, v9
	v_mul_lo_u16_e32 v13, 18, v5
	ds_write_b32 v16, v29 offset:48
	s_waitcnt lgkmcnt(0)
	s_barrier
	global_load_dwordx4 v[7:10], v[7:8], off offset:96
	v_sub_u16_e32 v29, v21, v13
	v_lshlrev_b32_sdwa v13, v30, v29 dst_sel:DWORD dst_unused:UNUSED_PAD src0_sel:DWORD src1_sel:BYTE_0
	global_load_dwordx4 v[13:16], v13, s[12:13] offset:96
	ds_read2_b32 v[24:25], v11 offset0:54 offset1:81
	ds_read2_b32 v[26:27], v11 offset0:108 offset1:135
	v_cmp_lt_u32_e64 s[0:1], 17, v20
	s_waitcnt vmcnt(1) lgkmcnt(1)
	v_mul_f32_e32 v30, v24, v8
	v_mul_f32_e32 v8, v17, v8
	v_fma_f32 v30, v17, v7, -v30
	v_fmac_f32_e32 v8, v24, v7
	s_waitcnt lgkmcnt(0)
	v_mul_f32_e32 v7, v26, v10
	v_mul_f32_e32 v10, v22, v10
	v_fma_f32 v7, v22, v9, -v7
	v_fmac_f32_e32 v10, v26, v9
	s_waitcnt vmcnt(0)
	v_mul_f32_e32 v9, v25, v14
	v_fma_f32 v17, v18, v13, -v9
	v_mul_f32_e32 v18, v18, v14
	v_fmac_f32_e32 v18, v25, v13
	v_mul_f32_e32 v9, v27, v16
	v_add_f32_e32 v13, v30, v7
	v_fma_f32 v22, v23, v15, -v9
	v_add_f32_e32 v9, v31, v30
	v_fmac_f32_e32 v31, -0.5, v13
	v_mov_b32_e32 v13, 0xd8
	v_cndmask_b32_e64 v13, 0, v13, s[0:1]
	v_mul_f32_e32 v16, v23, v16
	v_add_u32_e32 v13, 0, v13
	v_lshlrev_b32_e32 v14, 2, v34
	v_fmac_f32_e32 v16, v27, v15
	v_add3_u32 v15, v13, v14, v19
	v_sub_f32_e32 v13, v8, v10
	v_mov_b32_e32 v14, v31
	v_add_f32_e32 v9, v9, v7
	v_fmac_f32_e32 v14, 0x3f5db3d7, v13
	s_movk_i32 s0, 0xd8
	ds_read_b32 v23, v0
	ds_read_b32 v24, v12
	s_waitcnt lgkmcnt(0)
	s_barrier
	ds_write2_b32 v15, v9, v14 offset1:18
	v_lshlrev_b32_sdwa v9, v28, v29 dst_sel:DWORD dst_unused:UNUSED_PAD src0_sel:DWORD src1_sel:BYTE_0
	v_mad_u32_u24 v5, v5, s0, 0
	v_fmac_f32_e32 v31, 0xbf5db3d7, v13
	v_add_f32_e32 v13, v17, v22
	v_add3_u32 v5, v5, v9, v19
	v_add_f32_e32 v9, v32, v17
	v_fmac_f32_e32 v32, -0.5, v13
	v_sub_f32_e32 v13, v18, v16
	v_mov_b32_e32 v14, v32
	v_add_f32_e32 v9, v9, v22
	v_fmac_f32_e32 v14, 0x3f5db3d7, v13
	ds_write_b32 v15, v31 offset:144
	ds_write2_b32 v5, v9, v14 offset1:18
	v_add_f32_e32 v9, v23, v8
	v_add_f32_e32 v8, v8, v10
	v_fmac_f32_e32 v32, 0xbf5db3d7, v13
	v_add_f32_e32 v19, v9, v10
	v_fmac_f32_e32 v23, -0.5, v8
	v_sub_f32_e32 v25, v30, v7
	ds_write_b32 v5, v32 offset:144
	s_waitcnt lgkmcnt(0)
	s_barrier
	ds_read_b32 v13, v0
	ds_read_b32 v14, v12
	ds_read2_b32 v[9:10], v11 offset0:54 offset1:81
	ds_read2_b32 v[7:8], v11 offset0:108 offset1:135
	v_mov_b32_e32 v26, v23
	v_fmac_f32_e32 v26, 0xbf5db3d7, v25
	s_waitcnt lgkmcnt(0)
	s_barrier
	ds_write2_b32 v15, v19, v26 offset1:18
	v_add_f32_e32 v19, v24, v18
	v_add_f32_e32 v19, v19, v16
	;; [unrolled: 1-line block ×3, first 2 shown]
	v_fmac_f32_e32 v24, -0.5, v16
	v_fmac_f32_e32 v23, 0x3f5db3d7, v25
	s_movk_i32 s0, 0xa2
	v_sub_f32_e32 v16, v17, v22
	v_mov_b32_e32 v17, v24
	v_fmac_f32_e32 v17, 0xbf5db3d7, v16
	v_fmac_f32_e32 v24, 0x3f5db3d7, v16
	ds_write_b32 v15, v23 offset:144
	ds_write2_b32 v5, v19, v17 offset1:18
	ds_write_b32 v5, v24 offset:144
	s_waitcnt lgkmcnt(0)
	s_barrier
	s_and_saveexec_b64 s[6:7], vcc
	s_cbranch_execz .LBB0_14
; %bb.13:
	v_lshlrev_b32_e32 v5, 1, v21
	v_lshlrev_b64 v[15:16], 3, v[5:6]
	v_lshlrev_b32_e32 v5, 1, v20
	v_mov_b32_e32 v19, s13
	v_add_co_u32_e32 v15, vcc, s12, v15
	v_lshlrev_b64 v[5:6], 3, v[5:6]
	v_addc_co_u32_e32 v16, vcc, v19, v16, vcc
	v_add_co_u32_e32 v5, vcc, s12, v5
	global_load_dwordx4 v[15:18], v[15:16], off offset:384
	v_addc_co_u32_e32 v6, vcc, v19, v6, vcc
	global_load_dwordx4 v[21:24], v[5:6], off offset:384
	v_mul_lo_u32 v27, s4, v4
	v_lshrrev_b32_e32 v4, 1, v20
	s_mov_b32 s1, 0x4bda12f7
	v_mul_hi_u32 v28, v4, s1
	ds_read2_b32 v[5:6], v11 offset0:54 offset1:81
	ds_read2_b32 v[25:26], v11 offset0:108 offset1:135
	v_mul_lo_u32 v19, s5, v3
	v_mad_u64_u32 v[3:4], s[4:5], s4, v3, 0
	v_lshrrev_b32_e32 v11, 3, v28
	v_mul_lo_u32 v11, v11, 54
	ds_read_b32 v29, v12
	ds_read_b32 v30, v0
	v_add3_u32 v4, v4, v27, v19
	v_lshlrev_b64 v[0:1], 3, v[1:2]
	v_sub_u32_e32 v32, v20, v11
	v_mad_u64_u32 v[11:12], s[4:5], s2, v32, 0
	v_lshlrev_b64 v[2:3], 3, v[3:4]
	v_mov_b32_e32 v31, s11
	v_mov_b32_e32 v4, v12
	s_waitcnt lgkmcnt(3)
	v_mad_u64_u32 v[27:28], s[4:5], s3, v32, v[4:5]
	v_add_co_u32_e32 v19, vcc, s10, v2
	v_addc_co_u32_e32 v28, vcc, v31, v3, vcc
	v_mov_b32_e32 v12, v27
	v_add_co_u32_e32 v19, vcc, v19, v0
	s_waitcnt vmcnt(1)
	v_mul_f32_e32 v2, v6, v16
	s_waitcnt lgkmcnt(2)
	v_mul_f32_e32 v3, v26, v18
	v_mul_f32_e32 v4, v10, v16
	;; [unrolled: 1-line block ×3, first 2 shown]
	v_fma_f32 v2, v10, v15, -v2
	v_fma_f32 v8, v8, v17, -v3
	v_fmac_f32_e32 v4, v15, v6
	v_fmac_f32_e32 v16, v17, v26
	s_waitcnt vmcnt(0)
	v_mul_f32_e32 v3, v5, v22
	v_mul_f32_e32 v6, v25, v24
	;; [unrolled: 1-line block ×4, first 2 shown]
	v_fma_f32 v9, v9, v21, -v3
	v_add_f32_e32 v3, v4, v16
	v_fma_f32 v18, v7, v23, -v6
	s_waitcnt lgkmcnt(1)
	v_add_f32_e32 v6, v4, v29
	v_sub_f32_e32 v22, v4, v16
	v_add_f32_e32 v4, v14, v2
	v_fmac_f32_e32 v10, v21, v5
	v_fmac_f32_e32 v15, v23, v25
	v_sub_f32_e32 v17, v2, v8
	v_add_f32_e32 v7, v2, v8
	v_add_f32_e32 v4, v4, v8
	v_add_f32_e32 v8, v10, v15
	v_add_f32_e32 v5, v16, v6
	v_sub_f32_e32 v21, v9, v18
	v_add_f32_e32 v16, v9, v18
	v_add_f32_e32 v23, v13, v9
	s_waitcnt lgkmcnt(0)
	v_fma_f32 v9, -0.5, v8, v30
	v_fma_f32 v3, -0.5, v3, v29
	;; [unrolled: 1-line block ×3, first 2 shown]
	v_mov_b32_e32 v16, v9
	v_fma_f32 v2, -0.5, v7, v14
	v_mov_b32_e32 v7, v3
	v_fmac_f32_e32 v9, 0xbf5db3d7, v21
	v_fmac_f32_e32 v16, 0x3f5db3d7, v21
	v_add_u32_e32 v21, 54, v32
	v_fmac_f32_e32 v3, 0xbf5db3d7, v17
	v_add_f32_e32 v13, v23, v18
	v_fmac_f32_e32 v7, 0x3f5db3d7, v17
	v_mad_u64_u32 v[17:18], s[4:5], s2, v21, 0
	v_add_f32_e32 v14, v10, v30
	v_sub_f32_e32 v10, v10, v15
	v_add_f32_e32 v14, v15, v14
	v_mov_b32_e32 v15, v8
	v_mov_b32_e32 v6, v2
	v_fmac_f32_e32 v8, 0x3f5db3d7, v10
	v_fmac_f32_e32 v15, 0xbf5db3d7, v10
	v_mov_b32_e32 v10, v18
	v_fmac_f32_e32 v2, 0x3f5db3d7, v22
	v_fmac_f32_e32 v6, 0xbf5db3d7, v22
	v_addc_co_u32_e32 v22, vcc, v28, v1, vcc
	v_lshlrev_b64 v[0:1], 3, v[11:12]
	v_mad_u64_u32 v[10:11], s[4:5], s3, v21, v[10:11]
	v_add_co_u32_e32 v0, vcc, v19, v0
	v_add_u32_e32 v12, 27, v20
	v_addc_co_u32_e32 v1, vcc, v22, v1, vcc
	v_mov_b32_e32 v18, v10
	v_lshrrev_b32_e32 v10, 1, v12
	global_store_dwordx2 v[0:1], v[13:14], off
	v_mul_hi_u32 v13, v10, s1
	v_lshlrev_b64 v[0:1], 3, v[17:18]
	v_add_u32_e32 v14, 0x6c, v32
	v_mad_u64_u32 v[10:11], s[4:5], s2, v14, 0
	v_lshrrev_b32_e32 v13, 3, v13
	v_mul_lo_u32 v17, v13, 54
	v_add_co_u32_e32 v0, vcc, v19, v0
	v_addc_co_u32_e32 v1, vcc, v22, v1, vcc
	v_sub_u32_e32 v12, v12, v17
	v_mad_u64_u32 v[12:13], s[0:1], v13, s0, v[12:13]
	global_store_dwordx2 v[0:1], v[8:9], off
	v_mad_u64_u32 v[17:18], s[0:1], s2, v12, 0
	v_mad_u64_u32 v[13:14], s[0:1], s3, v14, v[11:12]
	v_mov_b32_e32 v8, v18
	v_mad_u64_u32 v[8:9], s[0:1], s3, v12, v[8:9]
	v_mov_b32_e32 v11, v13
	v_lshlrev_b64 v[0:1], 3, v[10:11]
	v_add_u32_e32 v10, 54, v12
	v_mov_b32_e32 v18, v8
	v_mad_u64_u32 v[8:9], s[0:1], s2, v10, 0
	v_add_co_u32_e32 v0, vcc, v19, v0
	v_addc_co_u32_e32 v1, vcc, v22, v1, vcc
	v_mad_u64_u32 v[9:10], s[0:1], s3, v10, v[9:10]
	v_add_u32_e32 v12, 0x6c, v12
	global_store_dwordx2 v[0:1], v[15:16], off
	v_lshlrev_b64 v[0:1], 3, v[17:18]
	v_mad_u64_u32 v[10:11], s[0:1], s2, v12, 0
	v_add_co_u32_e32 v0, vcc, v19, v0
	v_addc_co_u32_e32 v1, vcc, v22, v1, vcc
	global_store_dwordx2 v[0:1], v[4:5], off
	v_mov_b32_e32 v4, v11
	v_mad_u64_u32 v[4:5], s[0:1], s3, v12, v[4:5]
	v_lshlrev_b64 v[0:1], 3, v[8:9]
	v_add_co_u32_e32 v0, vcc, v19, v0
	v_addc_co_u32_e32 v1, vcc, v22, v1, vcc
	v_mov_b32_e32 v11, v4
	global_store_dwordx2 v[0:1], v[2:3], off
	v_lshlrev_b64 v[0:1], 3, v[10:11]
	v_add_co_u32_e32 v0, vcc, v19, v0
	v_addc_co_u32_e32 v1, vcc, v22, v1, vcc
	global_store_dwordx2 v[0:1], v[6:7], off
.LBB0_14:
	s_endpgm
	.section	.rodata,"a",@progbits
	.p2align	6, 0x0
	.amdhsa_kernel fft_rtc_fwd_len162_factors_6_3_3_3_wgs_243_tpt_27_halfLds_sp_op_CI_CI_sbrr_dirReg
		.amdhsa_group_segment_fixed_size 0
		.amdhsa_private_segment_fixed_size 0
		.amdhsa_kernarg_size 104
		.amdhsa_user_sgpr_count 6
		.amdhsa_user_sgpr_private_segment_buffer 1
		.amdhsa_user_sgpr_dispatch_ptr 0
		.amdhsa_user_sgpr_queue_ptr 0
		.amdhsa_user_sgpr_kernarg_segment_ptr 1
		.amdhsa_user_sgpr_dispatch_id 0
		.amdhsa_user_sgpr_flat_scratch_init 0
		.amdhsa_user_sgpr_private_segment_size 0
		.amdhsa_uses_dynamic_stack 0
		.amdhsa_system_sgpr_private_segment_wavefront_offset 0
		.amdhsa_system_sgpr_workgroup_id_x 1
		.amdhsa_system_sgpr_workgroup_id_y 0
		.amdhsa_system_sgpr_workgroup_id_z 0
		.amdhsa_system_sgpr_workgroup_info 0
		.amdhsa_system_vgpr_workitem_id 0
		.amdhsa_next_free_vgpr 35
		.amdhsa_next_free_sgpr 32
		.amdhsa_reserve_vcc 1
		.amdhsa_reserve_flat_scratch 0
		.amdhsa_float_round_mode_32 0
		.amdhsa_float_round_mode_16_64 0
		.amdhsa_float_denorm_mode_32 3
		.amdhsa_float_denorm_mode_16_64 3
		.amdhsa_dx10_clamp 1
		.amdhsa_ieee_mode 1
		.amdhsa_fp16_overflow 0
		.amdhsa_exception_fp_ieee_invalid_op 0
		.amdhsa_exception_fp_denorm_src 0
		.amdhsa_exception_fp_ieee_div_zero 0
		.amdhsa_exception_fp_ieee_overflow 0
		.amdhsa_exception_fp_ieee_underflow 0
		.amdhsa_exception_fp_ieee_inexact 0
		.amdhsa_exception_int_div_zero 0
	.end_amdhsa_kernel
	.text
.Lfunc_end0:
	.size	fft_rtc_fwd_len162_factors_6_3_3_3_wgs_243_tpt_27_halfLds_sp_op_CI_CI_sbrr_dirReg, .Lfunc_end0-fft_rtc_fwd_len162_factors_6_3_3_3_wgs_243_tpt_27_halfLds_sp_op_CI_CI_sbrr_dirReg
                                        ; -- End function
	.section	.AMDGPU.csdata,"",@progbits
; Kernel info:
; codeLenInByte = 4108
; NumSgprs: 36
; NumVgprs: 35
; ScratchSize: 0
; MemoryBound: 0
; FloatMode: 240
; IeeeMode: 1
; LDSByteSize: 0 bytes/workgroup (compile time only)
; SGPRBlocks: 4
; VGPRBlocks: 8
; NumSGPRsForWavesPerEU: 36
; NumVGPRsForWavesPerEU: 35
; Occupancy: 7
; WaveLimiterHint : 1
; COMPUTE_PGM_RSRC2:SCRATCH_EN: 0
; COMPUTE_PGM_RSRC2:USER_SGPR: 6
; COMPUTE_PGM_RSRC2:TRAP_HANDLER: 0
; COMPUTE_PGM_RSRC2:TGID_X_EN: 1
; COMPUTE_PGM_RSRC2:TGID_Y_EN: 0
; COMPUTE_PGM_RSRC2:TGID_Z_EN: 0
; COMPUTE_PGM_RSRC2:TIDIG_COMP_CNT: 0
	.type	__hip_cuid_fd075504fdd8fdf9,@object ; @__hip_cuid_fd075504fdd8fdf9
	.section	.bss,"aw",@nobits
	.globl	__hip_cuid_fd075504fdd8fdf9
__hip_cuid_fd075504fdd8fdf9:
	.byte	0                               ; 0x0
	.size	__hip_cuid_fd075504fdd8fdf9, 1

	.ident	"AMD clang version 19.0.0git (https://github.com/RadeonOpenCompute/llvm-project roc-6.4.0 25133 c7fe45cf4b819c5991fe208aaa96edf142730f1d)"
	.section	".note.GNU-stack","",@progbits
	.addrsig
	.addrsig_sym __hip_cuid_fd075504fdd8fdf9
	.amdgpu_metadata
---
amdhsa.kernels:
  - .args:
      - .actual_access:  read_only
        .address_space:  global
        .offset:         0
        .size:           8
        .value_kind:     global_buffer
      - .offset:         8
        .size:           8
        .value_kind:     by_value
      - .actual_access:  read_only
        .address_space:  global
        .offset:         16
        .size:           8
        .value_kind:     global_buffer
      - .actual_access:  read_only
        .address_space:  global
        .offset:         24
        .size:           8
        .value_kind:     global_buffer
      - .actual_access:  read_only
        .address_space:  global
        .offset:         32
        .size:           8
        .value_kind:     global_buffer
      - .offset:         40
        .size:           8
        .value_kind:     by_value
      - .actual_access:  read_only
        .address_space:  global
        .offset:         48
        .size:           8
        .value_kind:     global_buffer
      - .actual_access:  read_only
        .address_space:  global
        .offset:         56
        .size:           8
        .value_kind:     global_buffer
      - .offset:         64
        .size:           4
        .value_kind:     by_value
      - .actual_access:  read_only
        .address_space:  global
        .offset:         72
        .size:           8
        .value_kind:     global_buffer
      - .actual_access:  read_only
        .address_space:  global
        .offset:         80
        .size:           8
        .value_kind:     global_buffer
      - .actual_access:  read_only
        .address_space:  global
        .offset:         88
        .size:           8
        .value_kind:     global_buffer
      - .actual_access:  write_only
        .address_space:  global
        .offset:         96
        .size:           8
        .value_kind:     global_buffer
    .group_segment_fixed_size: 0
    .kernarg_segment_align: 8
    .kernarg_segment_size: 104
    .language:       OpenCL C
    .language_version:
      - 2
      - 0
    .max_flat_workgroup_size: 243
    .name:           fft_rtc_fwd_len162_factors_6_3_3_3_wgs_243_tpt_27_halfLds_sp_op_CI_CI_sbrr_dirReg
    .private_segment_fixed_size: 0
    .sgpr_count:     36
    .sgpr_spill_count: 0
    .symbol:         fft_rtc_fwd_len162_factors_6_3_3_3_wgs_243_tpt_27_halfLds_sp_op_CI_CI_sbrr_dirReg.kd
    .uniform_work_group_size: 1
    .uses_dynamic_stack: false
    .vgpr_count:     35
    .vgpr_spill_count: 0
    .wavefront_size: 64
amdhsa.target:   amdgcn-amd-amdhsa--gfx906
amdhsa.version:
  - 1
  - 2
...

	.end_amdgpu_metadata
